;; amdgpu-corpus repo=huggingface/hf-rocm-kernels kind=compiled arch=gfx942 opt=O3
	.text
	.amdgcn_target "amdgcn-amd-amdhsa--gfx942"
	.amdhsa_code_object_version 6
	.section	.text._Z24_residual_rms_vectorizedI7__half2Lb0EEvPK6__halfPS1_S3_PKfPT_S4_fii,"axG",@progbits,_Z24_residual_rms_vectorizedI7__half2Lb0EEvPK6__halfPS1_S3_PKfPT_S4_fii,comdat
	.protected	_Z24_residual_rms_vectorizedI7__half2Lb0EEvPK6__halfPS1_S3_PKfPT_S4_fii ; -- Begin function _Z24_residual_rms_vectorizedI7__half2Lb0EEvPK6__halfPS1_S3_PKfPT_S4_fii
	.globl	_Z24_residual_rms_vectorizedI7__half2Lb0EEvPK6__halfPS1_S3_PKfPT_S4_fii
	.p2align	8
	.type	_Z24_residual_rms_vectorizedI7__half2Lb0EEvPK6__halfPS1_S3_PKfPT_S4_fii,@function
_Z24_residual_rms_vectorizedI7__half2Lb0EEvPK6__halfPS1_S3_PKfPT_S4_fii: ; @_Z24_residual_rms_vectorizedI7__half2Lb0EEvPK6__halfPS1_S3_PKfPT_S4_fii
; %bb.0:
	s_load_dword s3, s[0:1], 0x4c
	s_load_dwordx2 s[8:9], s[0:1], 0x30
	s_load_dwordx2 s[4:5], s[0:1], 0x8
	;; [unrolled: 1-line block ×3, first 2 shown]
	v_lshlrev_b32_e32 v1, 3, v0
	s_waitcnt lgkmcnt(0)
	s_and_b32 s18, s3, 0xffff
	s_lshl_b32 s3, s18, 3
	v_cvt_f32_u32_e32 v3, s3
	s_mul_i32 s2, s2, s9
	v_add_u32_e32 v2, s2, v1
	s_add_i32 s2, s3, s9
	v_rcp_iflag_f32_e32 v4, v3
	v_xad_u32 v5, v1, -1, s2
	s_sub_i32 s2, 0, s3
	v_mov_b32_e32 v3, 0
	v_mul_f32_e32 v4, 0x4f7ffffe, v4
	v_cvt_u32_f32_e32 v4, v4
	v_lshlrev_b32_e32 v8, 4, v0
	s_mov_b32 s19, 0
	v_mul_lo_u32 v6, s2, v4
	v_mul_hi_u32 v6, v4, v6
	v_add_u32_e32 v4, v4, v6
	v_mul_hi_u32 v4, v5, v4
	v_mul_lo_u32 v6, v4, s3
	v_sub_u32_e32 v5, v5, v6
	v_add_u32_e32 v6, 1, v4
	v_cmp_le_u32_e32 vcc, s3, v5
	s_nop 1
	v_cndmask_b32_e32 v4, v4, v6, vcc
	v_subrev_u32_e32 v6, s3, v5
	v_cndmask_b32_e32 v5, v5, v6, vcc
	v_add_u32_e32 v6, 1, v4
	v_cmp_le_u32_e32 vcc, s3, v5
	s_nop 1
	v_cndmask_b32_e32 v9, v4, v6, vcc
	v_cmp_lt_i32_e64 s[2:3], 0, v9
	v_mov_b32_e32 v6, v3
	s_and_saveexec_b64 s[10:11], s[2:3]
	s_cbranch_execz .LBB0_4
; %bb.1:
	s_load_dwordx2 s[12:13], s[0:1], 0x0
	s_lshl_b32 s20, s18, 4
	v_lshlrev_b64 v[4:5], 1, v[2:3]
	s_mov_b64 s[14:15], 0
	v_mov_b32_e32 v6, 0
	s_mov_b64 s[16:17], s[4:5]
	v_mov_b32_e32 v7, v8
.LBB0_2:                                ; =>This Inner Loop Header: Depth=1
	s_waitcnt lgkmcnt(0)
	v_lshl_add_u64 v[18:19], s[12:13], 0, v[4:5]
	v_lshl_add_u64 v[20:21], s[16:17], 0, v[4:5]
	global_load_dwordx4 v[10:13], v[18:19], off
	global_load_dwordx4 v[14:17], v[20:21], off
	s_add_i32 s19, s19, 1
	s_add_u32 s12, s12, s20
	s_addc_u32 s13, s13, 0
	s_add_u32 s16, s16, s20
	v_cmp_ge_i32_e32 vcc, s19, v9
	s_addc_u32 s17, s17, 0
	s_or_b64 s[14:15], vcc, s[14:15]
	s_waitcnt vmcnt(0)
	v_pk_add_f16 v10, v10, v14
	v_pk_add_f16 v11, v11, v15
	v_cvt_f32_f16_e32 v14, v10
	v_cvt_f32_f16_sdwa v15, v10 dst_sel:DWORD dst_unused:UNUSED_PAD src0_sel:WORD_1
	v_pk_add_f16 v12, v12, v16
	v_pk_add_f16 v13, v13, v17
	v_cvt_f32_f16_e32 v16, v11
	v_cvt_f32_f16_sdwa v17, v11 dst_sel:DWORD dst_unused:UNUSED_PAD src0_sel:WORD_1
	v_cvt_f32_f16_e32 v18, v12
	v_cvt_f32_f16_sdwa v19, v12 dst_sel:DWORD dst_unused:UNUSED_PAD src0_sel:WORD_1
	ds_write_b128 v7, v[10:13]
	v_pk_mul_f32 v[10:11], v[14:15], v[14:15]
	v_cvt_f32_f16_e32 v20, v13
	v_add_f32_e32 v6, v6, v10
	v_cvt_f32_f16_sdwa v21, v13 dst_sel:DWORD dst_unused:UNUSED_PAD src0_sel:WORD_1
	v_pk_mul_f32 v[12:13], v[16:17], v[16:17]
	v_add_f32_e32 v6, v6, v11
	v_add_f32_e32 v6, v6, v12
	v_pk_mul_f32 v[14:15], v[18:19], v[18:19]
	v_add_f32_e32 v6, v6, v13
	v_add_f32_e32 v6, v6, v14
	;; [unrolled: 3-line block ×3, first 2 shown]
	v_add_u32_e32 v7, s20, v7
	v_add_f32_e32 v6, v6, v17
	s_andn2_b64 exec, exec, s[14:15]
	s_cbranch_execnz .LBB0_2
; %bb.3:
	s_or_b64 exec, exec, s[14:15]
.LBB0_4:
	s_or_b64 exec, exec, s[10:11]
	v_cvt_f32_i32_e32 v5, s9
	s_load_dwordx2 s[10:11], s[0:1], 0x10
	v_mbcnt_lo_u32_b32 v4, -1, 0
	v_mbcnt_hi_u32_b32 v4, -1, v4
	v_div_scale_f32 v7, s[0:1], v5, v5, v6
	v_rcp_f32_e32 v10, v7
	v_div_scale_f32 v11, vcc, v6, v5, v6
	v_fma_f32 v12, -v7, v10, 1.0
	v_fmac_f32_e32 v10, v12, v10
	v_mul_f32_e32 v12, v11, v10
	v_fma_f32 v13, -v7, v12, v11
	v_fmac_f32_e32 v12, v13, v10
	v_fma_f32 v7, -v7, v12, v11
	v_div_fmas_f32 v7, v7, v10, v12
	v_div_fixup_f32 v5, v7, v5, v6
	v_and_b32_e32 v6, 63, v4
	v_cmp_ne_u32_e32 vcc, 63, v6
	v_and_b32_e32 v10, 0x3c0, v0
	v_sub_u32_e64 v10, s18, v10 clamp
	v_addc_co_u32_e32 v7, vcc, 0, v4, vcc
	v_lshlrev_b32_e32 v7, 2, v7
	ds_bpermute_b32 v7, v7, v5
	v_add_u32_e32 v11, 1, v4
	v_cmp_lt_u32_e32 vcc, v11, v10
	v_add_u32_e32 v11, 2, v4
	s_waitcnt lgkmcnt(0)
	v_add_f32_e32 v7, v5, v7
	v_cndmask_b32_e32 v5, v5, v7, vcc
	v_cmp_gt_u32_e32 vcc, 62, v6
	s_nop 1
	v_cndmask_b32_e64 v7, 0, 1, vcc
	v_lshlrev_b32_e32 v7, 1, v7
	v_add_lshl_u32 v7, v7, v4, 2
	ds_bpermute_b32 v7, v7, v5
	v_cmp_lt_u32_e32 vcc, v11, v10
	v_add_u32_e32 v11, 4, v4
	s_waitcnt lgkmcnt(0)
	v_add_f32_e32 v7, v5, v7
	v_cndmask_b32_e32 v5, v5, v7, vcc
	v_cmp_gt_u32_e32 vcc, 60, v6
	s_nop 1
	v_cndmask_b32_e64 v7, 0, 1, vcc
	v_lshlrev_b32_e32 v7, 2, v7
	v_add_lshl_u32 v7, v7, v4, 2
	ds_bpermute_b32 v7, v7, v5
	;; [unrolled: 11-line block ×4, first 2 shown]
	v_cmp_lt_u32_e32 vcc, v11, v10
	s_waitcnt lgkmcnt(0)
	v_add_f32_e32 v7, v5, v7
	v_cndmask_b32_e32 v5, v5, v7, vcc
	v_cmp_gt_u32_e32 vcc, 32, v6
	v_add_u32_e32 v7, 32, v4
	s_nop 0
	v_cndmask_b32_e64 v6, 0, 1, vcc
	v_lshlrev_b32_e32 v6, 5, v6
	v_add_lshl_u32 v6, v6, v4, 2
	ds_bpermute_b32 v6, v6, v5
	v_cmp_lt_u32_e32 vcc, v7, v10
	s_waitcnt lgkmcnt(0)
	v_add_f32_e32 v6, v5, v6
	v_cndmask_b32_e32 v5, v5, v6, vcc
	v_cmp_eq_u32_e32 vcc, 0, v4
	s_and_saveexec_b64 s[0:1], vcc
	s_cbranch_execz .LBB0_6
; %bb.5:
	v_lshrrev_b32_e32 v6, 4, v0
	v_and_b32_e32 v6, 60, v6
	ds_write_b32 v6, v5 offset:32768
.LBB0_6:
	s_or_b64 exec, exec, s[0:1]
	v_cmp_gt_u32_e32 vcc, 16, v0
	s_waitcnt lgkmcnt(0)
	s_barrier
	s_and_saveexec_b64 s[12:13], vcc
	s_cbranch_execz .LBB0_8
; %bb.7:
	v_lshlrev_b32_e32 v5, 2, v4
	ds_read_b32 v5, v5 offset:32768
	v_and_b32_e32 v6, 15, v4
	v_cmp_ne_u32_e32 vcc, 15, v6
	s_add_i32 s0, s18, 63
	s_lshr_b32 s9, s0, 6
	v_addc_co_u32_e32 v7, vcc, 0, v4, vcc
	v_lshlrev_b32_e32 v7, 2, v7
	s_waitcnt lgkmcnt(0)
	ds_bpermute_b32 v7, v7, v5
	v_add_u32_e32 v10, 1, v6
	v_cmp_gt_u32_e64 s[0:1], 14, v6
	v_cmp_gt_u32_e32 vcc, s9, v10
	v_add_u32_e32 v11, 2, v6
	v_cndmask_b32_e64 v10, 0, 1, s[0:1]
	s_waitcnt lgkmcnt(0)
	v_add_f32_e32 v7, v5, v7
	v_lshlrev_b32_e32 v10, 1, v10
	v_cndmask_b32_e32 v7, v5, v7, vcc
	v_add_lshl_u32 v10, v10, v4, 2
	ds_bpermute_b32 v10, v10, v7
	v_cmp_gt_u32_e64 s[0:1], s9, v11
	v_add_u32_e32 v11, 4, v6
	s_waitcnt lgkmcnt(0)
	v_add_f32_e32 v10, v7, v10
	v_cndmask_b32_e64 v7, v7, v10, s[0:1]
	v_cmp_gt_u32_e64 s[0:1], 12, v6
	s_nop 1
	v_cndmask_b32_e64 v10, 0, 1, s[0:1]
	v_lshlrev_b32_e32 v10, 2, v10
	v_add_lshl_u32 v10, v10, v4, 2
	ds_bpermute_b32 v10, v10, v7
	v_cmp_gt_u32_e64 s[0:1], s9, v11
	s_waitcnt lgkmcnt(0)
	v_add_f32_e32 v10, v7, v10
	v_cndmask_b32_e64 v7, v7, v10, s[0:1]
	v_cmp_gt_u32_e64 s[0:1], 8, v6
	v_add_u32_e32 v6, 8, v6
	s_nop 0
	v_cndmask_b32_e64 v10, 0, 1, s[0:1]
	v_lshlrev_b32_e32 v10, 3, v10
	v_add_lshl_u32 v4, v10, v4, 2
	ds_bpermute_b32 v4, v4, v7
	v_cmp_gt_u32_e64 s[0:1], s9, v6
	s_waitcnt lgkmcnt(0)
	v_add_f32_e32 v4, v7, v4
	v_cndmask_b32_e64 v4, v7, v4, s[0:1]
	v_cndmask_b32_e32 v5, v5, v4, vcc
.LBB0_8:
	s_or_b64 exec, exec, s[12:13]
	v_cmp_eq_u32_e32 vcc, 0, v0
	s_and_saveexec_b64 s[0:1], vcc
	s_cbranch_execz .LBB0_10
; %bb.9:
	v_add_f32_e32 v0, s8, v5
	s_mov_b32 s8, 0x800000
	v_mul_f32_e32 v4, 0x4b800000, v0
	v_cmp_gt_f32_e32 vcc, s8, v0
	s_nop 1
	v_cndmask_b32_e32 v0, v0, v4, vcc
	v_rsq_f32_e32 v0, v0
	s_nop 0
	v_mul_f32_e32 v4, 0x45800000, v0
	v_cndmask_b32_e32 v0, v0, v4, vcc
	v_mov_b32_e32 v4, 0
	ds_write_b32 v4, v0 offset:32832
.LBB0_10:
	s_or_b64 exec, exec, s[0:1]
	s_waitcnt lgkmcnt(0)
	s_barrier
	s_and_saveexec_b64 s[0:1], s[2:3]
	s_cbranch_execz .LBB0_13
; %bb.11:
	v_mov_b32_e32 v7, 0
	ds_read_b32 v0, v7 offset:32832
	v_lshlrev_b32_e32 v6, 1, v1
	v_lshl_add_u64 v[4:5], s[10:11], 0, v[6:7]
	v_lshrrev_b32_e32 v6, 1, v2
	v_lshl_add_u64 v[2:3], v[2:3], 1, s[4:5]
	s_mov_b32 s8, 0
	v_lshl_add_u64 v[6:7], v[6:7], 2, s[6:7]
	s_waitcnt lgkmcnt(0)
	v_mov_b32_e32 v1, v0
	s_lshl_b32 s6, s18, 4
	v_lshl_add_u64 v[2:3], v[2:3], 0, 8
	s_mov_b64 s[0:1], 0
	s_mov_b64 s[2:3], 0
.LBB0_12:                               ; =>This Inner Loop Header: Depth=1
	v_lshl_add_u64 v[10:11], v[4:5], 0, s[2:3]
	global_load_dwordx4 v[10:13], v[10:11], off
	ds_read_b128 v[14:17], v8
	v_lshl_add_u64 v[18:19], v[2:3], 0, s[2:3]
	s_add_i32 s8, s8, 1
	v_lshl_add_u64 v[20:21], v[6:7], 0, s[2:3]
	s_add_u32 s2, s2, s6
	s_waitcnt lgkmcnt(0)
	global_store_dwordx4 v[18:19], v[14:17], off offset:-8
	v_cvt_f32_f16_sdwa v19, v14 dst_sel:DWORD dst_unused:UNUSED_PAD src0_sel:WORD_1
	v_cvt_f32_f16_e32 v18, v14
	v_cvt_f32_f16_sdwa v23, v15 dst_sel:DWORD dst_unused:UNUSED_PAD src0_sel:WORD_1
	v_cvt_f32_f16_e32 v22, v15
	;; [unrolled: 2-line block ×4, first 2 shown]
	v_pk_mul_f32 v[16:17], v[0:1], v[18:19]
	v_pk_mul_f32 v[18:19], v[0:1], v[22:23]
	;; [unrolled: 1-line block ×4, first 2 shown]
	v_cvt_f16_f32_e32 v16, v16
	v_cvt_f16_f32_e32 v17, v17
	;; [unrolled: 1-line block ×8, first 2 shown]
	v_cmp_ge_i32_e32 vcc, s8, v9
	s_addc_u32 s3, s3, 0
	v_pack_b32_f16 v16, v16, v17
	v_pack_b32_f16 v17, v18, v19
	;; [unrolled: 1-line block ×4, first 2 shown]
	v_add_u32_e32 v8, s6, v8
	s_or_b64 s[0:1], vcc, s[0:1]
	s_waitcnt vmcnt(1)
	v_pk_mul_f16 v10, v10, v16
	v_pk_mul_f16 v11, v11, v17
	;; [unrolled: 1-line block ×4, first 2 shown]
	global_store_dwordx4 v[20:21], v[10:13], off
	s_andn2_b64 exec, exec, s[0:1]
	s_cbranch_execnz .LBB0_12
.LBB0_13:
	s_endpgm
	.section	.rodata,"a",@progbits
	.p2align	6, 0x0
	.amdhsa_kernel _Z24_residual_rms_vectorizedI7__half2Lb0EEvPK6__halfPS1_S3_PKfPT_S4_fii
		.amdhsa_group_segment_fixed_size 32836
		.amdhsa_private_segment_fixed_size 0
		.amdhsa_kernarg_size 320
		.amdhsa_user_sgpr_count 2
		.amdhsa_user_sgpr_dispatch_ptr 0
		.amdhsa_user_sgpr_queue_ptr 0
		.amdhsa_user_sgpr_kernarg_segment_ptr 1
		.amdhsa_user_sgpr_dispatch_id 0
		.amdhsa_user_sgpr_kernarg_preload_length 0
		.amdhsa_user_sgpr_kernarg_preload_offset 0
		.amdhsa_user_sgpr_private_segment_size 0
		.amdhsa_uses_dynamic_stack 0
		.amdhsa_enable_private_segment 0
		.amdhsa_system_sgpr_workgroup_id_x 1
		.amdhsa_system_sgpr_workgroup_id_y 0
		.amdhsa_system_sgpr_workgroup_id_z 0
		.amdhsa_system_sgpr_workgroup_info 0
		.amdhsa_system_vgpr_workitem_id 0
		.amdhsa_next_free_vgpr 26
		.amdhsa_next_free_sgpr 21
		.amdhsa_accum_offset 28
		.amdhsa_reserve_vcc 1
		.amdhsa_float_round_mode_32 0
		.amdhsa_float_round_mode_16_64 0
		.amdhsa_float_denorm_mode_32 3
		.amdhsa_float_denorm_mode_16_64 3
		.amdhsa_dx10_clamp 1
		.amdhsa_ieee_mode 1
		.amdhsa_fp16_overflow 0
		.amdhsa_tg_split 0
		.amdhsa_exception_fp_ieee_invalid_op 0
		.amdhsa_exception_fp_denorm_src 0
		.amdhsa_exception_fp_ieee_div_zero 0
		.amdhsa_exception_fp_ieee_overflow 0
		.amdhsa_exception_fp_ieee_underflow 0
		.amdhsa_exception_fp_ieee_inexact 0
		.amdhsa_exception_int_div_zero 0
	.end_amdhsa_kernel
	.section	.text._Z24_residual_rms_vectorizedI7__half2Lb0EEvPK6__halfPS1_S3_PKfPT_S4_fii,"axG",@progbits,_Z24_residual_rms_vectorizedI7__half2Lb0EEvPK6__halfPS1_S3_PKfPT_S4_fii,comdat
.Lfunc_end0:
	.size	_Z24_residual_rms_vectorizedI7__half2Lb0EEvPK6__halfPS1_S3_PKfPT_S4_fii, .Lfunc_end0-_Z24_residual_rms_vectorizedI7__half2Lb0EEvPK6__halfPS1_S3_PKfPT_S4_fii
                                        ; -- End function
	.section	.AMDGPU.csdata,"",@progbits
; Kernel info:
; codeLenInByte = 1700
; NumSgprs: 27
; NumVgprs: 26
; NumAgprs: 0
; TotalNumVgprs: 26
; ScratchSize: 0
; MemoryBound: 0
; FloatMode: 240
; IeeeMode: 1
; LDSByteSize: 32836 bytes/workgroup (compile time only)
; SGPRBlocks: 3
; VGPRBlocks: 3
; NumSGPRsForWavesPerEU: 27
; NumVGPRsForWavesPerEU: 26
; AccumOffset: 28
; Occupancy: 4
; WaveLimiterHint : 0
; COMPUTE_PGM_RSRC2:SCRATCH_EN: 0
; COMPUTE_PGM_RSRC2:USER_SGPR: 2
; COMPUTE_PGM_RSRC2:TRAP_HANDLER: 0
; COMPUTE_PGM_RSRC2:TGID_X_EN: 1
; COMPUTE_PGM_RSRC2:TGID_Y_EN: 0
; COMPUTE_PGM_RSRC2:TGID_Z_EN: 0
; COMPUTE_PGM_RSRC2:TIDIG_COMP_CNT: 0
; COMPUTE_PGM_RSRC3_GFX90A:ACCUM_OFFSET: 6
; COMPUTE_PGM_RSRC3_GFX90A:TG_SPLIT: 0
	.section	.text._Z20_residual_rms_scalarI6__halfLb0EEvPKS0_PS0_S2_PKfPT_S3_fii,"axG",@progbits,_Z20_residual_rms_scalarI6__halfLb0EEvPKS0_PS0_S2_PKfPT_S3_fii,comdat
	.protected	_Z20_residual_rms_scalarI6__halfLb0EEvPKS0_PS0_S2_PKfPT_S3_fii ; -- Begin function _Z20_residual_rms_scalarI6__halfLb0EEvPKS0_PS0_S2_PKfPT_S3_fii
	.globl	_Z20_residual_rms_scalarI6__halfLb0EEvPKS0_PS0_S2_PKfPT_S3_fii
	.p2align	8
	.type	_Z20_residual_rms_scalarI6__halfLb0EEvPKS0_PS0_S2_PKfPT_S3_fii,@function
_Z20_residual_rms_scalarI6__halfLb0EEvPKS0_PS0_S2_PKfPT_S3_fii: ; @_Z20_residual_rms_scalarI6__halfLb0EEvPKS0_PS0_S2_PKfPT_S3_fii
; %bb.0:
	s_load_dwordx2 s[4:5], s[0:1], 0x30
	s_load_dwordx2 s[6:7], s[0:1], 0x8
	s_mov_b32 s17, 0
	s_waitcnt lgkmcnt(0)
	s_mul_i32 s16, s2, s5
	s_lshl_b64 s[8:9], s[16:17], 1
	s_add_u32 s6, s6, s8
	s_addc_u32 s7, s7, s9
	s_add_u32 s14, s0, 64
	v_cmp_gt_i32_e64 s[2:3], s5, v0
	v_cmp_le_i32_e32 vcc, s5, v0
	s_addc_u32 s15, s1, 0
                                        ; implicit-def: $sgpr16
	s_and_saveexec_b64 s[10:11], vcc
	s_xor_b64 s[10:11], exec, s[10:11]
	s_cbranch_execz .LBB1_2
; %bb.1:
	s_load_dword s12, s[14:15], 0xc
	s_waitcnt lgkmcnt(0)
	s_and_b32 s16, s12, 0xffff
.LBB1_2:
	s_or_saveexec_b64 s[12:13], s[10:11]
	s_load_dwordx2 s[10:11], s[0:1], 0x20
	v_mov_b32_e32 v4, s17
	v_mov_b32_e32 v2, s16
	s_xor_b64 exec, exec, s[12:13]
	s_cbranch_execz .LBB1_6
; %bb.3:
	s_load_dwordx2 s[16:17], s[0:1], 0x0
	s_load_dword s18, s[14:15], 0xc
	s_mov_b64 s[14:15], 0
	v_mov_b32_e32 v4, 0
	v_mov_b32_e32 v2, v0
	s_waitcnt lgkmcnt(0)
	s_add_u32 s16, s16, s8
	s_addc_u32 s17, s17, s9
	s_and_b32 s18, s18, 0xffff
.LBB1_4:                                ; =>This Inner Loop Header: Depth=1
	v_ashrrev_i32_e32 v3, 31, v2
	v_lshlrev_b64 v[6:7], 1, v[2:3]
	v_lshl_add_u64 v[8:9], s[16:17], 0, v[6:7]
	v_lshl_add_u64 v[6:7], s[6:7], 0, v[6:7]
	global_load_ushort v1, v[8:9], off
	global_load_ushort v3, v[6:7], off
	v_add_u32_e32 v2, s18, v2
	v_cmp_le_i32_e32 vcc, s5, v2
	s_or_b64 s[14:15], vcc, s[14:15]
	s_waitcnt vmcnt(0)
	v_add_f16_e32 v1, v1, v3
	v_fma_mix_f32 v4, v1, v1, v4 op_sel_hi:[1,1,0]
	global_store_short v[6:7], v1, off
	s_andn2_b64 exec, exec, s[14:15]
	s_cbranch_execnz .LBB1_4
; %bb.5:
	s_or_b64 exec, exec, s[14:15]
	v_mov_b32_e32 v2, s18
.LBB1_6:
	s_or_b64 exec, exec, s[12:13]
	v_cvt_f32_i32_e32 v3, s5
	s_load_dwordx2 s[12:13], s[0:1], 0x10
	v_mbcnt_lo_u32_b32 v1, -1, 0
	v_mbcnt_hi_u32_b32 v1, -1, v1
	v_div_scale_f32 v5, s[0:1], v3, v3, v4
	v_rcp_f32_e32 v6, v5
	v_div_scale_f32 v7, vcc, v4, v3, v4
	v_fma_f32 v8, -v5, v6, 1.0
	v_fmac_f32_e32 v6, v8, v6
	v_mul_f32_e32 v8, v7, v6
	v_fma_f32 v9, -v5, v8, v7
	v_fmac_f32_e32 v8, v9, v6
	v_fma_f32 v5, -v5, v8, v7
	v_div_fmas_f32 v5, v5, v6, v8
	v_div_fixup_f32 v3, v5, v3, v4
	v_and_b32_e32 v4, 63, v1
	v_cmp_ne_u32_e32 vcc, 63, v4
	v_and_b32_e32 v6, 0x3c0, v0
	v_sub_u32_e64 v6, v2, v6 clamp
	v_addc_co_u32_e32 v5, vcc, 0, v1, vcc
	v_lshlrev_b32_e32 v5, 2, v5
	ds_bpermute_b32 v5, v5, v3
	v_add_u32_e32 v7, 1, v1
	v_cmp_lt_u32_e32 vcc, v7, v6
	v_add_u32_e32 v7, 2, v1
	s_waitcnt lgkmcnt(0)
	v_add_f32_e32 v5, v3, v5
	v_cndmask_b32_e32 v3, v3, v5, vcc
	v_cmp_gt_u32_e32 vcc, 62, v4
	s_nop 1
	v_cndmask_b32_e64 v5, 0, 1, vcc
	v_lshlrev_b32_e32 v5, 1, v5
	v_add_lshl_u32 v5, v5, v1, 2
	ds_bpermute_b32 v5, v5, v3
	v_cmp_lt_u32_e32 vcc, v7, v6
	v_add_u32_e32 v7, 4, v1
	s_waitcnt lgkmcnt(0)
	v_add_f32_e32 v5, v3, v5
	v_cndmask_b32_e32 v3, v3, v5, vcc
	v_cmp_gt_u32_e32 vcc, 60, v4
	s_nop 1
	v_cndmask_b32_e64 v5, 0, 1, vcc
	v_lshlrev_b32_e32 v5, 2, v5
	v_add_lshl_u32 v5, v5, v1, 2
	ds_bpermute_b32 v5, v5, v3
	;; [unrolled: 11-line block ×4, first 2 shown]
	v_cmp_lt_u32_e32 vcc, v7, v6
	s_waitcnt lgkmcnt(0)
	v_add_f32_e32 v5, v3, v5
	v_cndmask_b32_e32 v3, v3, v5, vcc
	v_cmp_gt_u32_e32 vcc, 32, v4
	v_add_u32_e32 v5, 32, v1
	s_nop 0
	v_cndmask_b32_e64 v4, 0, 1, vcc
	v_lshlrev_b32_e32 v4, 5, v4
	v_add_lshl_u32 v4, v4, v1, 2
	ds_bpermute_b32 v4, v4, v3
	v_cmp_lt_u32_e32 vcc, v5, v6
	s_waitcnt lgkmcnt(0)
	v_add_f32_e32 v4, v3, v4
	v_cndmask_b32_e32 v3, v3, v4, vcc
	v_cmp_eq_u32_e32 vcc, 0, v1
	s_and_saveexec_b64 s[0:1], vcc
	s_cbranch_execz .LBB1_8
; %bb.7:
	v_lshrrev_b32_e32 v4, 4, v0
	v_and_b32_e32 v4, 60, v4
	ds_write_b32 v4, v3
.LBB1_8:
	s_or_b64 exec, exec, s[0:1]
	v_cmp_gt_u32_e32 vcc, 16, v0
	s_waitcnt lgkmcnt(0)
	s_barrier
	s_and_saveexec_b64 s[14:15], vcc
	s_cbranch_execz .LBB1_10
; %bb.9:
	v_lshlrev_b32_e32 v3, 2, v1
	ds_read_b32 v3, v3
	v_and_b32_e32 v4, 15, v1
	v_cmp_ne_u32_e32 vcc, 15, v4
	v_add_u32_e32 v6, 63, v2
	v_lshrrev_b32_e32 v6, 6, v6
	v_addc_co_u32_e32 v5, vcc, 0, v1, vcc
	v_lshlrev_b32_e32 v5, 2, v5
	s_waitcnt lgkmcnt(0)
	ds_bpermute_b32 v5, v5, v3
	v_add_u32_e32 v7, 1, v4
	v_cmp_gt_u32_e64 s[0:1], 14, v4
	v_cmp_lt_u32_e32 vcc, v7, v6
	v_add_u32_e32 v8, 2, v4
	v_cndmask_b32_e64 v7, 0, 1, s[0:1]
	s_waitcnt lgkmcnt(0)
	v_add_f32_e32 v5, v3, v5
	v_lshlrev_b32_e32 v7, 1, v7
	v_cndmask_b32_e32 v5, v3, v5, vcc
	v_add_lshl_u32 v7, v7, v1, 2
	ds_bpermute_b32 v7, v7, v5
	v_cmp_lt_u32_e64 s[0:1], v8, v6
	v_add_u32_e32 v8, 4, v4
	s_waitcnt lgkmcnt(0)
	v_add_f32_e32 v7, v5, v7
	v_cndmask_b32_e64 v5, v5, v7, s[0:1]
	v_cmp_gt_u32_e64 s[0:1], 12, v4
	s_nop 1
	v_cndmask_b32_e64 v7, 0, 1, s[0:1]
	v_lshlrev_b32_e32 v7, 2, v7
	v_add_lshl_u32 v7, v7, v1, 2
	ds_bpermute_b32 v7, v7, v5
	v_cmp_lt_u32_e64 s[0:1], v8, v6
	s_waitcnt lgkmcnt(0)
	v_add_f32_e32 v7, v5, v7
	v_cndmask_b32_e64 v5, v5, v7, s[0:1]
	v_cmp_gt_u32_e64 s[0:1], 8, v4
	v_add_u32_e32 v4, 8, v4
	s_nop 0
	v_cndmask_b32_e64 v7, 0, 1, s[0:1]
	v_lshlrev_b32_e32 v7, 3, v7
	v_add_lshl_u32 v1, v7, v1, 2
	ds_bpermute_b32 v1, v1, v5
	v_cmp_lt_u32_e64 s[0:1], v4, v6
	s_waitcnt lgkmcnt(0)
	v_add_f32_e32 v1, v5, v1
	v_cndmask_b32_e64 v1, v5, v1, s[0:1]
	v_cndmask_b32_e32 v3, v3, v1, vcc
.LBB1_10:
	s_or_b64 exec, exec, s[14:15]
	v_cmp_eq_u32_e32 vcc, 0, v0
	s_and_saveexec_b64 s[0:1], vcc
	s_cbranch_execz .LBB1_12
; %bb.11:
	v_add_f32_e32 v1, s4, v3
	s_mov_b32 s4, 0x800000
	v_mul_f32_e32 v3, 0x4b800000, v1
	v_cmp_gt_f32_e32 vcc, s4, v1
	s_nop 1
	v_cndmask_b32_e32 v1, v1, v3, vcc
	v_rsq_f32_e32 v1, v1
	s_nop 0
	v_mul_f32_e32 v3, 0x45800000, v1
	v_cndmask_b32_e32 v1, v1, v3, vcc
	v_mov_b32_e32 v3, 0
	ds_write_b32 v3, v1 offset:64
.LBB1_12:
	s_or_b64 exec, exec, s[0:1]
	s_waitcnt lgkmcnt(0)
	s_barrier
	s_and_saveexec_b64 s[0:1], s[2:3]
	s_cbranch_execz .LBB1_15
; %bb.13:
	v_mov_b32_e32 v1, 0
	ds_read_b32 v3, v1 offset:64
	s_add_u32 s0, s10, s8
	s_addc_u32 s1, s11, s9
	s_mov_b64 s[2:3], 0
.LBB1_14:                               ; =>This Inner Loop Header: Depth=1
	v_ashrrev_i32_e32 v1, 31, v0
	v_lshlrev_b64 v[4:5], 1, v[0:1]
	v_lshl_add_u64 v[6:7], s[6:7], 0, v[4:5]
	global_load_ushort v1, v[6:7], off
	v_lshl_add_u64 v[6:7], s[12:13], 0, v[4:5]
	global_load_ushort v6, v[6:7], off
	v_add_u32_e32 v0, v0, v2
	v_cmp_le_i32_e32 vcc, s5, v0
	v_lshl_add_u64 v[4:5], s[0:1], 0, v[4:5]
	s_or_b64 s[2:3], vcc, s[2:3]
	s_waitcnt vmcnt(1) lgkmcnt(0)
	v_fma_mixlo_f16 v1, v3, v1, 0 op_sel_hi:[0,1,0]
	s_waitcnt vmcnt(0)
	v_mul_f16_e32 v1, v6, v1
	global_store_short v[4:5], v1, off
	s_andn2_b64 exec, exec, s[2:3]
	s_cbranch_execnz .LBB1_14
.LBB1_15:
	s_endpgm
	.section	.rodata,"a",@progbits
	.p2align	6, 0x0
	.amdhsa_kernel _Z20_residual_rms_scalarI6__halfLb0EEvPKS0_PS0_S2_PKfPT_S3_fii
		.amdhsa_group_segment_fixed_size 68
		.amdhsa_private_segment_fixed_size 0
		.amdhsa_kernarg_size 320
		.amdhsa_user_sgpr_count 2
		.amdhsa_user_sgpr_dispatch_ptr 0
		.amdhsa_user_sgpr_queue_ptr 0
		.amdhsa_user_sgpr_kernarg_segment_ptr 1
		.amdhsa_user_sgpr_dispatch_id 0
		.amdhsa_user_sgpr_kernarg_preload_length 0
		.amdhsa_user_sgpr_kernarg_preload_offset 0
		.amdhsa_user_sgpr_private_segment_size 0
		.amdhsa_uses_dynamic_stack 0
		.amdhsa_enable_private_segment 0
		.amdhsa_system_sgpr_workgroup_id_x 1
		.amdhsa_system_sgpr_workgroup_id_y 0
		.amdhsa_system_sgpr_workgroup_id_z 0
		.amdhsa_system_sgpr_workgroup_info 0
		.amdhsa_system_vgpr_workitem_id 0
		.amdhsa_next_free_vgpr 10
		.amdhsa_next_free_sgpr 19
		.amdhsa_accum_offset 12
		.amdhsa_reserve_vcc 1
		.amdhsa_float_round_mode_32 0
		.amdhsa_float_round_mode_16_64 0
		.amdhsa_float_denorm_mode_32 3
		.amdhsa_float_denorm_mode_16_64 3
		.amdhsa_dx10_clamp 1
		.amdhsa_ieee_mode 1
		.amdhsa_fp16_overflow 0
		.amdhsa_tg_split 0
		.amdhsa_exception_fp_ieee_invalid_op 0
		.amdhsa_exception_fp_denorm_src 0
		.amdhsa_exception_fp_ieee_div_zero 0
		.amdhsa_exception_fp_ieee_overflow 0
		.amdhsa_exception_fp_ieee_underflow 0
		.amdhsa_exception_fp_ieee_inexact 0
		.amdhsa_exception_int_div_zero 0
	.end_amdhsa_kernel
	.section	.text._Z20_residual_rms_scalarI6__halfLb0EEvPKS0_PS0_S2_PKfPT_S3_fii,"axG",@progbits,_Z20_residual_rms_scalarI6__halfLb0EEvPKS0_PS0_S2_PKfPT_S3_fii,comdat
.Lfunc_end1:
	.size	_Z20_residual_rms_scalarI6__halfLb0EEvPKS0_PS0_S2_PKfPT_S3_fii, .Lfunc_end1-_Z20_residual_rms_scalarI6__halfLb0EEvPKS0_PS0_S2_PKfPT_S3_fii
                                        ; -- End function
	.section	.AMDGPU.csdata,"",@progbits
; Kernel info:
; codeLenInByte = 1260
; NumSgprs: 25
; NumVgprs: 10
; NumAgprs: 0
; TotalNumVgprs: 10
; ScratchSize: 0
; MemoryBound: 0
; FloatMode: 240
; IeeeMode: 1
; LDSByteSize: 68 bytes/workgroup (compile time only)
; SGPRBlocks: 3
; VGPRBlocks: 1
; NumSGPRsForWavesPerEU: 25
; NumVGPRsForWavesPerEU: 10
; AccumOffset: 12
; Occupancy: 8
; WaveLimiterHint : 0
; COMPUTE_PGM_RSRC2:SCRATCH_EN: 0
; COMPUTE_PGM_RSRC2:USER_SGPR: 2
; COMPUTE_PGM_RSRC2:TRAP_HANDLER: 0
; COMPUTE_PGM_RSRC2:TGID_X_EN: 1
; COMPUTE_PGM_RSRC2:TGID_Y_EN: 0
; COMPUTE_PGM_RSRC2:TGID_Z_EN: 0
; COMPUTE_PGM_RSRC2:TIDIG_COMP_CNT: 0
; COMPUTE_PGM_RSRC3_GFX90A:ACCUM_OFFSET: 2
; COMPUTE_PGM_RSRC3_GFX90A:TG_SPLIT: 0
	.section	.text._Z24_residual_rms_vectorizedItLb1EEvPK6__halfPS0_S2_PKfPT_S3_fii,"axG",@progbits,_Z24_residual_rms_vectorizedItLb1EEvPK6__halfPS0_S2_PKfPT_S3_fii,comdat
	.protected	_Z24_residual_rms_vectorizedItLb1EEvPK6__halfPS0_S2_PKfPT_S3_fii ; -- Begin function _Z24_residual_rms_vectorizedItLb1EEvPK6__halfPS0_S2_PKfPT_S3_fii
	.globl	_Z24_residual_rms_vectorizedItLb1EEvPK6__halfPS0_S2_PKfPT_S3_fii
	.p2align	8
	.type	_Z24_residual_rms_vectorizedItLb1EEvPK6__halfPS0_S2_PKfPT_S3_fii,@function
_Z24_residual_rms_vectorizedItLb1EEvPK6__halfPS0_S2_PKfPT_S3_fii: ; @_Z24_residual_rms_vectorizedItLb1EEvPK6__halfPS0_S2_PKfPT_S3_fii
; %bb.0:
	s_load_dword s3, s[0:1], 0x4c
	s_load_dwordx4 s[8:11], s[0:1], 0x30
	s_load_dwordx2 s[14:15], s[0:1], 0x8
	s_load_dwordx2 s[16:17], s[0:1], 0x18
	;; [unrolled: 1-line block ×3, first 2 shown]
	s_waitcnt lgkmcnt(0)
	s_and_b32 s3, s3, 0xffff
	s_lshl_b32 s6, s3, 3
	v_cvt_f32_u32_e32 v1, s6
	s_mul_i32 s4, s2, s9
	v_lshlrev_b32_e32 v4, 3, v0
	v_add_u32_e32 v2, s4, v4
	v_rcp_iflag_f32_e32 v1, v1
	s_add_i32 s4, s6, s9
	v_xad_u32 v6, v4, -1, s4
	s_sub_i32 s4, 0, s6
	v_mul_f32_e32 v1, 0x4f7ffffe, v1
	v_cvt_u32_f32_e32 v1, v1
	v_mov_b32_e32 v3, 0
	v_lshlrev_b32_e32 v5, 4, v0
	s_mov_b32 s7, 0
	v_mul_lo_u32 v7, s4, v1
	v_mul_hi_u32 v7, v1, v7
	v_add_u32_e32 v1, v1, v7
	v_mul_hi_u32 v1, v6, v1
	v_mul_lo_u32 v7, v1, s6
	v_sub_u32_e32 v6, v6, v7
	v_add_u32_e32 v7, 1, v1
	v_cmp_le_u32_e32 vcc, s6, v6
	s_nop 1
	v_cndmask_b32_e32 v1, v1, v7, vcc
	v_subrev_u32_e32 v7, s6, v6
	v_cndmask_b32_e32 v6, v6, v7, vcc
	v_add_u32_e32 v7, 1, v1
	v_cmp_le_u32_e32 vcc, s6, v6
	s_nop 1
	v_cndmask_b32_e32 v10, v1, v7, vcc
	v_cmp_lt_i32_e64 s[4:5], 0, v10
	v_mov_b32_e32 v1, v3
	s_and_saveexec_b64 s[18:19], s[4:5]
	s_cbranch_execz .LBB2_4
; %bb.1:
	s_load_dwordx2 s[20:21], s[0:1], 0x0
	v_lshlrev_b64 v[6:7], 1, v[2:3]
	s_lshl_b32 s11, s3, 4
	s_mov_b64 s[22:23], 0
	v_mov_b32_e32 v1, 0
	s_mov_b64 s[24:25], s[14:15]
	v_mov_b32_e32 v8, v5
.LBB2_2:                                ; =>This Inner Loop Header: Depth=1
	s_waitcnt lgkmcnt(0)
	v_lshl_add_u64 v[20:21], s[20:21], 0, v[6:7]
	v_lshl_add_u64 v[22:23], s[24:25], 0, v[6:7]
	global_load_dwordx4 v[12:15], v[20:21], off
	global_load_dwordx4 v[16:19], v[22:23], off
	s_add_i32 s7, s7, 1
	s_add_u32 s20, s20, s11
	s_addc_u32 s21, s21, 0
	s_add_u32 s24, s24, s11
	v_cmp_ge_i32_e32 vcc, s7, v10
	s_addc_u32 s25, s25, 0
	s_or_b64 s[22:23], vcc, s[22:23]
	s_waitcnt vmcnt(0)
	v_pk_add_f16 v12, v12, v16
	v_pk_add_f16 v13, v13, v17
	v_cvt_f32_f16_e32 v16, v12
	v_cvt_f32_f16_sdwa v17, v12 dst_sel:DWORD dst_unused:UNUSED_PAD src0_sel:WORD_1
	v_pk_add_f16 v14, v14, v18
	v_pk_add_f16 v15, v15, v19
	v_cvt_f32_f16_e32 v18, v13
	v_cvt_f32_f16_sdwa v19, v13 dst_sel:DWORD dst_unused:UNUSED_PAD src0_sel:WORD_1
	v_cvt_f32_f16_e32 v20, v14
	v_cvt_f32_f16_sdwa v21, v14 dst_sel:DWORD dst_unused:UNUSED_PAD src0_sel:WORD_1
	ds_write_b128 v8, v[12:15]
	v_pk_mul_f32 v[12:13], v[16:17], v[16:17]
	v_cvt_f32_f16_e32 v22, v15
	v_add_f32_e32 v1, v1, v12
	v_cvt_f32_f16_sdwa v23, v15 dst_sel:DWORD dst_unused:UNUSED_PAD src0_sel:WORD_1
	v_pk_mul_f32 v[14:15], v[18:19], v[18:19]
	v_add_f32_e32 v1, v1, v13
	v_add_f32_e32 v1, v1, v14
	v_pk_mul_f32 v[16:17], v[20:21], v[20:21]
	v_add_f32_e32 v1, v1, v15
	v_add_f32_e32 v1, v1, v16
	v_pk_mul_f32 v[18:19], v[22:23], v[22:23]
	v_add_f32_e32 v1, v1, v17
	v_add_f32_e32 v1, v1, v18
	v_add_u32_e32 v8, s11, v8
	v_add_f32_e32 v1, v1, v19
	s_andn2_b64 exec, exec, s[22:23]
	s_cbranch_execnz .LBB2_2
; %bb.3:
	s_or_b64 exec, exec, s[22:23]
.LBB2_4:
	s_or_b64 exec, exec, s[18:19]
	v_cvt_f32_i32_e32 v7, s9
	s_load_dwordx2 s[20:21], s[0:1], 0x10
	s_load_dwordx2 s[18:19], s[0:1], 0x20
	v_mbcnt_lo_u32_b32 v6, -1, 0
	v_mbcnt_hi_u32_b32 v6, -1, v6
	v_div_scale_f32 v8, s[0:1], v7, v7, v1
	v_rcp_f32_e32 v9, v8
	v_div_scale_f32 v11, vcc, v1, v7, v1
	v_fma_f32 v12, -v8, v9, 1.0
	v_fmac_f32_e32 v9, v12, v9
	v_mul_f32_e32 v12, v11, v9
	v_fma_f32 v13, -v8, v12, v11
	v_fmac_f32_e32 v12, v13, v9
	v_fma_f32 v8, -v8, v12, v11
	v_div_fmas_f32 v8, v8, v9, v12
	v_div_fixup_f32 v1, v8, v7, v1
	v_and_b32_e32 v7, 63, v6
	v_cmp_ne_u32_e32 vcc, 63, v7
	v_and_b32_e32 v9, 0x3c0, v0
	v_sub_u32_e64 v9, s3, v9 clamp
	v_addc_co_u32_e32 v8, vcc, 0, v6, vcc
	v_lshlrev_b32_e32 v8, 2, v8
	ds_bpermute_b32 v8, v8, v1
	v_add_u32_e32 v11, 1, v6
	v_cmp_lt_u32_e32 vcc, v11, v9
	v_add_u32_e32 v11, 2, v6
	s_waitcnt lgkmcnt(0)
	v_add_f32_e32 v8, v1, v8
	v_cndmask_b32_e32 v1, v1, v8, vcc
	v_cmp_gt_u32_e32 vcc, 62, v7
	s_nop 1
	v_cndmask_b32_e64 v8, 0, 1, vcc
	v_lshlrev_b32_e32 v8, 1, v8
	v_add_lshl_u32 v8, v8, v6, 2
	ds_bpermute_b32 v8, v8, v1
	v_cmp_lt_u32_e32 vcc, v11, v9
	v_add_u32_e32 v11, 4, v6
	s_waitcnt lgkmcnt(0)
	v_add_f32_e32 v8, v1, v8
	v_cndmask_b32_e32 v1, v1, v8, vcc
	v_cmp_gt_u32_e32 vcc, 60, v7
	s_nop 1
	v_cndmask_b32_e64 v8, 0, 1, vcc
	v_lshlrev_b32_e32 v8, 2, v8
	v_add_lshl_u32 v8, v8, v6, 2
	ds_bpermute_b32 v8, v8, v1
	;; [unrolled: 11-line block ×4, first 2 shown]
	v_cmp_lt_u32_e32 vcc, v11, v9
	s_waitcnt lgkmcnt(0)
	v_add_f32_e32 v8, v1, v8
	v_cndmask_b32_e32 v1, v1, v8, vcc
	v_cmp_gt_u32_e32 vcc, 32, v7
	v_add_u32_e32 v8, 32, v6
	s_nop 0
	v_cndmask_b32_e64 v7, 0, 1, vcc
	v_lshlrev_b32_e32 v7, 5, v7
	v_add_lshl_u32 v7, v7, v6, 2
	ds_bpermute_b32 v7, v7, v1
	v_cmp_lt_u32_e32 vcc, v8, v9
	s_waitcnt lgkmcnt(0)
	v_add_f32_e32 v7, v1, v7
	v_cndmask_b32_e32 v1, v1, v7, vcc
	v_cmp_eq_u32_e32 vcc, 0, v6
	s_and_saveexec_b64 s[0:1], vcc
	s_cbranch_execz .LBB2_6
; %bb.5:
	v_lshrrev_b32_e32 v7, 4, v0
	v_and_b32_e32 v7, 60, v7
	ds_write_b32 v7, v1 offset:32768
.LBB2_6:
	s_or_b64 exec, exec, s[0:1]
	v_cmp_gt_u32_e32 vcc, 16, v0
	s_waitcnt lgkmcnt(0)
	s_barrier
	s_and_saveexec_b64 s[22:23], vcc
	s_cbranch_execz .LBB2_8
; %bb.7:
	v_lshlrev_b32_e32 v1, 2, v6
	ds_read_b32 v1, v1 offset:32768
	v_and_b32_e32 v7, 15, v6
	v_cmp_ne_u32_e32 vcc, 15, v7
	s_add_i32 s0, s3, 63
	s_lshr_b32 s7, s0, 6
	v_addc_co_u32_e32 v8, vcc, 0, v6, vcc
	v_lshlrev_b32_e32 v8, 2, v8
	s_waitcnt lgkmcnt(0)
	ds_bpermute_b32 v8, v8, v1
	v_add_u32_e32 v9, 1, v7
	v_cmp_gt_u32_e64 s[0:1], 14, v7
	v_cmp_gt_u32_e32 vcc, s7, v9
	v_add_u32_e32 v11, 2, v7
	v_cndmask_b32_e64 v9, 0, 1, s[0:1]
	s_waitcnt lgkmcnt(0)
	v_add_f32_e32 v8, v1, v8
	v_lshlrev_b32_e32 v9, 1, v9
	v_cndmask_b32_e32 v8, v1, v8, vcc
	v_add_lshl_u32 v9, v9, v6, 2
	ds_bpermute_b32 v9, v9, v8
	v_cmp_gt_u32_e64 s[0:1], s7, v11
	v_add_u32_e32 v11, 4, v7
	s_waitcnt lgkmcnt(0)
	v_add_f32_e32 v9, v8, v9
	v_cndmask_b32_e64 v8, v8, v9, s[0:1]
	v_cmp_gt_u32_e64 s[0:1], 12, v7
	s_nop 1
	v_cndmask_b32_e64 v9, 0, 1, s[0:1]
	v_lshlrev_b32_e32 v9, 2, v9
	v_add_lshl_u32 v9, v9, v6, 2
	ds_bpermute_b32 v9, v9, v8
	v_cmp_gt_u32_e64 s[0:1], s7, v11
	s_waitcnt lgkmcnt(0)
	v_add_f32_e32 v9, v8, v9
	v_cndmask_b32_e64 v8, v8, v9, s[0:1]
	v_cmp_gt_u32_e64 s[0:1], 8, v7
	v_add_u32_e32 v7, 8, v7
	s_nop 0
	v_cndmask_b32_e64 v9, 0, 1, s[0:1]
	v_lshlrev_b32_e32 v9, 3, v9
	v_add_lshl_u32 v6, v9, v6, 2
	ds_bpermute_b32 v6, v6, v8
	v_cmp_gt_u32_e64 s[0:1], s7, v7
	s_waitcnt lgkmcnt(0)
	v_add_f32_e32 v6, v8, v6
	v_cndmask_b32_e64 v6, v8, v6, s[0:1]
	v_cndmask_b32_e32 v1, v1, v6, vcc
.LBB2_8:
	s_or_b64 exec, exec, s[22:23]
	v_cmp_eq_u32_e32 vcc, 0, v0
	s_and_saveexec_b64 s[0:1], vcc
	s_cbranch_execz .LBB2_10
; %bb.9:
	v_add_f32_e32 v0, s8, v1
	s_mov_b32 s7, 0x800000
	v_mul_f32_e32 v1, 0x4b800000, v0
	v_cmp_gt_f32_e32 vcc, s7, v0
	s_nop 1
	v_cndmask_b32_e32 v0, v0, v1, vcc
	v_rsq_f32_e32 v0, v0
	s_nop 0
	v_mul_f32_e32 v1, 0x45800000, v0
	v_cndmask_b32_e32 v0, v0, v1, vcc
	v_mov_b32_e32 v1, 0
	ds_write_b32 v1, v0 offset:32832
.LBB2_10:
	s_or_b64 exec, exec, s[0:1]
	v_mov_b32_e32 v9, 0
	s_waitcnt lgkmcnt(0)
	s_barrier
	ds_read_b32 v0, v9 offset:32832
	s_load_dword s7, s[16:17], 0x0
	s_waitcnt lgkmcnt(0)
	v_div_scale_f32 v1, s[0:1], s7, s7, v0
	v_rcp_f32_e32 v6, v1
	v_div_scale_f32 v7, vcc, v0, s7, v0
	v_fma_f32 v8, -v1, v6, 1.0
	v_fmac_f32_e32 v6, v8, v6
	v_mul_f32_e32 v8, v7, v6
	v_fma_f32 v11, -v1, v8, v7
	v_fmac_f32_e32 v8, v11, v6
	v_fma_f32 v1, -v1, v8, v7
	v_div_fmas_f32 v1, v1, v6, v8
	v_div_fixup_f32 v0, v1, s7, v0
	ds_write_b32 v9, v0 offset:32832
	s_and_saveexec_b64 s[0:1], s[4:5]
	s_cbranch_execz .LBB2_13
; %bb.11:
	v_lshlrev_b32_e32 v8, 1, v4
	s_mov_b32 s7, 0
	v_lshl_add_u64 v[6:7], s[20:21], 0, v[8:9]
	v_and_b32_e32 v8, -2, v2
	v_lshl_add_u64 v[2:3], v[2:3], 1, s[14:15]
	v_lshl_add_u64 v[8:9], s[18:19], 0, v[8:9]
	v_mov_b32_e32 v1, v0
	v_lshl_add_u64 v[2:3], v[2:3], 0, 8
	s_lshl_b32 s3, s3, 4
	s_mov_b64 s[4:5], 0
	s_mov_b32 s11, 0x5040100
	s_mov_b64 s[8:9], 0
	s_mov_b32 s14, s7
.LBB2_12:                               ; =>This Inner Loop Header: Depth=1
	v_lshl_add_u64 v[12:13], v[6:7], 0, s[8:9]
	global_load_dwordx4 v[12:15], v[12:13], off
	ds_read_b128 v[16:19], v5
	v_mov_b32_e32 v11, 0
	v_mov_b32_e32 v34, 0
	;; [unrolled: 1-line block ×4, first 2 shown]
	s_waitcnt lgkmcnt(0)
	v_cvt_f32_f16_sdwa v23, v16 dst_sel:DWORD dst_unused:UNUSED_PAD src0_sel:WORD_1
	v_cvt_f32_f16_e32 v22, v16
	v_cvt_f32_f16_sdwa v25, v17 dst_sel:DWORD dst_unused:UNUSED_PAD src0_sel:WORD_1
	v_cvt_f32_f16_e32 v24, v17
	;; [unrolled: 2-line block ×4, first 2 shown]
	s_add_i32 s14, s14, 1
	v_lshl_add_u64 v[20:21], v[2:3], 0, s[8:9]
	s_add_u32 s8, s8, s3
	v_cmp_ge_i32_e32 vcc, s14, v10
	s_addc_u32 s9, s9, 0
	v_add_u32_e32 v5, s3, v5
	s_or_b64 s[4:5], vcc, s[4:5]
	global_store_dwordx4 v[20:21], v[16:19], off offset:-8
	s_waitcnt vmcnt(1)
	v_cvt_f32_f16_e32 v30, v12
	v_cvt_f32_f16_sdwa v31, v12 dst_sel:DWORD dst_unused:UNUSED_PAD src0_sel:WORD_1
	v_cvt_f32_f16_e32 v12, v13
	v_cvt_f32_f16_sdwa v13, v13 dst_sel:DWORD dst_unused:UNUSED_PAD src0_sel:WORD_1
	;; [unrolled: 2-line block ×4, first 2 shown]
	v_pk_mul_f32 v[22:23], v[22:23], v[30:31]
	v_pk_mul_f32 v[12:13], v[24:25], v[12:13]
	;; [unrolled: 1-line block ×8, first 2 shown]
	v_cvt_pk_fp8_f32 v11, v22, v23
	v_cvt_pk_fp8_f32 v35, v24, v25
	v_cvt_pk_fp8_f32 v36, v14, v15
	v_cvt_pk_fp8_f32 v34, v12, v13
	v_perm_b32 v13, v36, v35, s11
	v_perm_b32 v12, v34, v11, s11
	global_store_dwordx2 v[8:9], v[12:13], off
	v_lshl_add_u64 v[8:9], v[8:9], 0, s[6:7]
	s_andn2_b64 exec, exec, s[4:5]
	s_cbranch_execnz .LBB2_12
.LBB2_13:
	s_or_b64 exec, exec, s[0:1]
	v_cmp_gt_i32_e32 vcc, s10, v4
	s_and_saveexec_b64 s[0:1], vcc
	s_cbranch_execz .LBB2_16
; %bb.14:
	s_mul_i32 s0, s2, s10
	s_mov_b32 s1, 0
	s_lshl_b64 s[0:1], s[0:1], 1
	s_add_u32 s0, s12, s0
	v_mov_b32_e32 v0, 0
	s_addc_u32 s1, s13, s1
	s_mov_b64 s[2:3], 0
	v_mov_b32_e32 v1, v0
	v_mov_b32_e32 v2, v0
	;; [unrolled: 1-line block ×3, first 2 shown]
.LBB2_15:                               ; =>This Inner Loop Header: Depth=1
	v_ashrrev_i32_e32 v5, 31, v4
	v_lshl_add_u64 v[6:7], v[4:5], 1, s[0:1]
	v_add_u32_e32 v4, s6, v4
	v_cmp_le_i32_e32 vcc, s10, v4
	s_or_b64 s[2:3], vcc, s[2:3]
	global_store_dwordx4 v[6:7], v[0:3], off
	s_andn2_b64 exec, exec, s[2:3]
	s_cbranch_execnz .LBB2_15
.LBB2_16:
	s_endpgm
	.section	.rodata,"a",@progbits
	.p2align	6, 0x0
	.amdhsa_kernel _Z24_residual_rms_vectorizedItLb1EEvPK6__halfPS0_S2_PKfPT_S3_fii
		.amdhsa_group_segment_fixed_size 32836
		.amdhsa_private_segment_fixed_size 0
		.amdhsa_kernarg_size 320
		.amdhsa_user_sgpr_count 2
		.amdhsa_user_sgpr_dispatch_ptr 0
		.amdhsa_user_sgpr_queue_ptr 0
		.amdhsa_user_sgpr_kernarg_segment_ptr 1
		.amdhsa_user_sgpr_dispatch_id 0
		.amdhsa_user_sgpr_kernarg_preload_length 0
		.amdhsa_user_sgpr_kernarg_preload_offset 0
		.amdhsa_user_sgpr_private_segment_size 0
		.amdhsa_uses_dynamic_stack 0
		.amdhsa_enable_private_segment 0
		.amdhsa_system_sgpr_workgroup_id_x 1
		.amdhsa_system_sgpr_workgroup_id_y 0
		.amdhsa_system_sgpr_workgroup_id_z 0
		.amdhsa_system_sgpr_workgroup_info 0
		.amdhsa_system_vgpr_workitem_id 0
		.amdhsa_next_free_vgpr 37
		.amdhsa_next_free_sgpr 26
		.amdhsa_accum_offset 40
		.amdhsa_reserve_vcc 1
		.amdhsa_float_round_mode_32 0
		.amdhsa_float_round_mode_16_64 0
		.amdhsa_float_denorm_mode_32 3
		.amdhsa_float_denorm_mode_16_64 3
		.amdhsa_dx10_clamp 1
		.amdhsa_ieee_mode 1
		.amdhsa_fp16_overflow 0
		.amdhsa_tg_split 0
		.amdhsa_exception_fp_ieee_invalid_op 0
		.amdhsa_exception_fp_denorm_src 0
		.amdhsa_exception_fp_ieee_div_zero 0
		.amdhsa_exception_fp_ieee_overflow 0
		.amdhsa_exception_fp_ieee_underflow 0
		.amdhsa_exception_fp_ieee_inexact 0
		.amdhsa_exception_int_div_zero 0
	.end_amdhsa_kernel
	.section	.text._Z24_residual_rms_vectorizedItLb1EEvPK6__halfPS0_S2_PKfPT_S3_fii,"axG",@progbits,_Z24_residual_rms_vectorizedItLb1EEvPK6__halfPS0_S2_PKfPT_S3_fii,comdat
.Lfunc_end2:
	.size	_Z24_residual_rms_vectorizedItLb1EEvPK6__halfPS0_S2_PKfPT_S3_fii, .Lfunc_end2-_Z24_residual_rms_vectorizedItLb1EEvPK6__halfPS0_S2_PKfPT_S3_fii
                                        ; -- End function
	.section	.AMDGPU.csdata,"",@progbits
; Kernel info:
; codeLenInByte = 1960
; NumSgprs: 32
; NumVgprs: 37
; NumAgprs: 0
; TotalNumVgprs: 37
; ScratchSize: 0
; MemoryBound: 0
; FloatMode: 240
; IeeeMode: 1
; LDSByteSize: 32836 bytes/workgroup (compile time only)
; SGPRBlocks: 3
; VGPRBlocks: 4
; NumSGPRsForWavesPerEU: 32
; NumVGPRsForWavesPerEU: 37
; AccumOffset: 40
; Occupancy: 4
; WaveLimiterHint : 0
; COMPUTE_PGM_RSRC2:SCRATCH_EN: 0
; COMPUTE_PGM_RSRC2:USER_SGPR: 2
; COMPUTE_PGM_RSRC2:TRAP_HANDLER: 0
; COMPUTE_PGM_RSRC2:TGID_X_EN: 1
; COMPUTE_PGM_RSRC2:TGID_Y_EN: 0
; COMPUTE_PGM_RSRC2:TGID_Z_EN: 0
; COMPUTE_PGM_RSRC2:TIDIG_COMP_CNT: 0
; COMPUTE_PGM_RSRC3_GFX90A:ACCUM_OFFSET: 9
; COMPUTE_PGM_RSRC3_GFX90A:TG_SPLIT: 0
	.section	.text._Z20_residual_rms_scalarIhLb1EEvPK6__halfPS0_S2_PKfPT_S3_fii,"axG",@progbits,_Z20_residual_rms_scalarIhLb1EEvPK6__halfPS0_S2_PKfPT_S3_fii,comdat
	.protected	_Z20_residual_rms_scalarIhLb1EEvPK6__halfPS0_S2_PKfPT_S3_fii ; -- Begin function _Z20_residual_rms_scalarIhLb1EEvPK6__halfPS0_S2_PKfPT_S3_fii
	.globl	_Z20_residual_rms_scalarIhLb1EEvPK6__halfPS0_S2_PKfPT_S3_fii
	.p2align	8
	.type	_Z20_residual_rms_scalarIhLb1EEvPK6__halfPS0_S2_PKfPT_S3_fii,@function
_Z20_residual_rms_scalarIhLb1EEvPK6__halfPS0_S2_PKfPT_S3_fii: ; @_Z20_residual_rms_scalarIhLb1EEvPK6__halfPS0_S2_PKfPT_S3_fii
; %bb.0:
	s_load_dwordx4 s[8:11], s[0:1], 0x30
	s_load_dwordx2 s[4:5], s[0:1], 0x8
	s_mov_b32 s19, 0
                                        ; implicit-def: $sgpr3
	s_waitcnt lgkmcnt(0)
	s_mul_i32 s18, s2, s9
	s_lshl_b64 s[22:23], s[18:19], 1
	s_add_u32 s6, s4, s22
	s_addc_u32 s7, s5, s23
	s_add_u32 s24, s0, 64
	v_cmp_gt_i32_e64 s[4:5], s9, v0
	v_cmp_le_i32_e32 vcc, s9, v0
	s_addc_u32 s25, s1, 0
	s_and_saveexec_b64 s[12:13], vcc
	s_xor_b64 s[12:13], exec, s[12:13]
	s_cbranch_execz .LBB3_2
; %bb.1:
	s_load_dword s3, s[24:25], 0xc
	s_waitcnt lgkmcnt(0)
	s_and_b32 s3, s3, 0xffff
.LBB3_2:
	s_or_saveexec_b64 s[20:21], s[12:13]
	s_load_dwordx4 s[12:15], s[0:1], 0x18
	s_load_dwordx2 s[16:17], s[0:1], 0x28
	v_mov_b32_e32 v5, s19
	v_mov_b32_e32 v4, s3
	s_xor_b64 exec, exec, s[20:21]
	s_cbranch_execz .LBB3_6
; %bb.3:
	s_load_dwordx2 s[26:27], s[0:1], 0x0
	s_load_dword s3, s[24:25], 0xc
	s_mov_b64 s[24:25], 0
	v_mov_b32_e32 v5, 0
	v_mov_b32_e32 v2, v0
	s_waitcnt lgkmcnt(0)
	s_add_u32 s22, s26, s22
	s_addc_u32 s23, s27, s23
	s_and_b32 s3, s3, 0xffff
.LBB3_4:                                ; =>This Inner Loop Header: Depth=1
	v_ashrrev_i32_e32 v3, 31, v2
	v_lshlrev_b64 v[6:7], 1, v[2:3]
	v_lshl_add_u64 v[8:9], s[22:23], 0, v[6:7]
	v_lshl_add_u64 v[6:7], s[6:7], 0, v[6:7]
	global_load_ushort v1, v[8:9], off
	global_load_ushort v3, v[6:7], off
	v_add_u32_e32 v2, s3, v2
	v_cmp_le_i32_e32 vcc, s9, v2
	s_or_b64 s[24:25], vcc, s[24:25]
	s_waitcnt vmcnt(0)
	v_add_f16_e32 v1, v1, v3
	v_fma_mix_f32 v5, v1, v1, v5 op_sel_hi:[1,1,0]
	global_store_short v[6:7], v1, off
	s_andn2_b64 exec, exec, s[24:25]
	s_cbranch_execnz .LBB3_4
; %bb.5:
	s_or_b64 exec, exec, s[24:25]
	v_mov_b32_e32 v4, s3
.LBB3_6:
	s_or_b64 exec, exec, s[20:21]
	v_cvt_f32_i32_e32 v2, s9
	s_load_dwordx2 s[20:21], s[0:1], 0x10
	v_mbcnt_lo_u32_b32 v1, -1, 0
	v_mbcnt_hi_u32_b32 v1, -1, v1
	v_div_scale_f32 v3, s[0:1], v2, v2, v5
	v_rcp_f32_e32 v6, v3
	v_div_scale_f32 v7, vcc, v5, v2, v5
	v_fma_f32 v8, -v3, v6, 1.0
	v_fmac_f32_e32 v6, v8, v6
	v_mul_f32_e32 v8, v7, v6
	v_fma_f32 v9, -v3, v8, v7
	v_fmac_f32_e32 v8, v9, v6
	v_fma_f32 v3, -v3, v8, v7
	v_div_fmas_f32 v3, v3, v6, v8
	v_div_fixup_f32 v2, v3, v2, v5
	v_and_b32_e32 v3, 63, v1
	v_cmp_ne_u32_e32 vcc, 63, v3
	v_and_b32_e32 v6, 0x3c0, v0
	v_sub_u32_e64 v6, v4, v6 clamp
	v_addc_co_u32_e32 v5, vcc, 0, v1, vcc
	v_lshlrev_b32_e32 v5, 2, v5
	ds_bpermute_b32 v5, v5, v2
	v_add_u32_e32 v7, 1, v1
	v_cmp_lt_u32_e32 vcc, v7, v6
	v_add_u32_e32 v7, 2, v1
	s_waitcnt lgkmcnt(0)
	v_add_f32_e32 v5, v2, v5
	v_cndmask_b32_e32 v2, v2, v5, vcc
	v_cmp_gt_u32_e32 vcc, 62, v3
	s_nop 1
	v_cndmask_b32_e64 v5, 0, 1, vcc
	v_lshlrev_b32_e32 v5, 1, v5
	v_add_lshl_u32 v5, v5, v1, 2
	ds_bpermute_b32 v5, v5, v2
	v_cmp_lt_u32_e32 vcc, v7, v6
	v_add_u32_e32 v7, 4, v1
	s_waitcnt lgkmcnt(0)
	v_add_f32_e32 v5, v2, v5
	v_cndmask_b32_e32 v2, v2, v5, vcc
	v_cmp_gt_u32_e32 vcc, 60, v3
	s_nop 1
	v_cndmask_b32_e64 v5, 0, 1, vcc
	v_lshlrev_b32_e32 v5, 2, v5
	v_add_lshl_u32 v5, v5, v1, 2
	ds_bpermute_b32 v5, v5, v2
	;; [unrolled: 11-line block ×4, first 2 shown]
	v_cmp_lt_u32_e32 vcc, v7, v6
	s_waitcnt lgkmcnt(0)
	v_add_f32_e32 v5, v2, v5
	v_cndmask_b32_e32 v2, v2, v5, vcc
	v_cmp_gt_u32_e32 vcc, 32, v3
	v_add_u32_e32 v5, 32, v1
	s_nop 0
	v_cndmask_b32_e64 v3, 0, 1, vcc
	v_lshlrev_b32_e32 v3, 5, v3
	v_add_lshl_u32 v3, v3, v1, 2
	ds_bpermute_b32 v3, v3, v2
	v_cmp_lt_u32_e32 vcc, v5, v6
	s_waitcnt lgkmcnt(0)
	v_add_f32_e32 v3, v2, v3
	v_cndmask_b32_e32 v2, v2, v3, vcc
	v_cmp_eq_u32_e32 vcc, 0, v1
	s_and_saveexec_b64 s[0:1], vcc
	s_cbranch_execz .LBB3_8
; %bb.7:
	v_lshrrev_b32_e32 v3, 4, v0
	v_and_b32_e32 v3, 60, v3
	ds_write_b32 v3, v2
.LBB3_8:
	s_or_b64 exec, exec, s[0:1]
	v_cmp_gt_u32_e32 vcc, 16, v0
	s_waitcnt lgkmcnt(0)
	s_barrier
	s_and_saveexec_b64 s[22:23], vcc
	s_cbranch_execz .LBB3_10
; %bb.9:
	v_lshlrev_b32_e32 v2, 2, v1
	ds_read_b32 v2, v2
	v_and_b32_e32 v3, 15, v1
	v_cmp_ne_u32_e32 vcc, 15, v3
	v_add_u32_e32 v6, 63, v4
	v_lshrrev_b32_e32 v6, 6, v6
	v_addc_co_u32_e32 v5, vcc, 0, v1, vcc
	v_lshlrev_b32_e32 v5, 2, v5
	s_waitcnt lgkmcnt(0)
	ds_bpermute_b32 v5, v5, v2
	v_add_u32_e32 v7, 1, v3
	v_cmp_gt_u32_e64 s[0:1], 14, v3
	v_cmp_lt_u32_e32 vcc, v7, v6
	v_add_u32_e32 v8, 2, v3
	v_cndmask_b32_e64 v7, 0, 1, s[0:1]
	s_waitcnt lgkmcnt(0)
	v_add_f32_e32 v5, v2, v5
	v_lshlrev_b32_e32 v7, 1, v7
	v_cndmask_b32_e32 v5, v2, v5, vcc
	v_add_lshl_u32 v7, v7, v1, 2
	ds_bpermute_b32 v7, v7, v5
	v_cmp_lt_u32_e64 s[0:1], v8, v6
	v_add_u32_e32 v8, 4, v3
	s_waitcnt lgkmcnt(0)
	v_add_f32_e32 v7, v5, v7
	v_cndmask_b32_e64 v5, v5, v7, s[0:1]
	v_cmp_gt_u32_e64 s[0:1], 12, v3
	s_nop 1
	v_cndmask_b32_e64 v7, 0, 1, s[0:1]
	v_lshlrev_b32_e32 v7, 2, v7
	v_add_lshl_u32 v7, v7, v1, 2
	ds_bpermute_b32 v7, v7, v5
	v_cmp_lt_u32_e64 s[0:1], v8, v6
	s_waitcnt lgkmcnt(0)
	v_add_f32_e32 v7, v5, v7
	v_cndmask_b32_e64 v5, v5, v7, s[0:1]
	v_cmp_gt_u32_e64 s[0:1], 8, v3
	v_add_u32_e32 v3, 8, v3
	s_nop 0
	v_cndmask_b32_e64 v7, 0, 1, s[0:1]
	v_lshlrev_b32_e32 v7, 3, v7
	v_add_lshl_u32 v1, v7, v1, 2
	ds_bpermute_b32 v1, v1, v5
	v_cmp_lt_u32_e64 s[0:1], v3, v6
	s_waitcnt lgkmcnt(0)
	v_add_f32_e32 v1, v5, v1
	v_cndmask_b32_e64 v1, v5, v1, s[0:1]
	v_cndmask_b32_e32 v2, v2, v1, vcc
.LBB3_10:
	s_or_b64 exec, exec, s[22:23]
	v_cmp_eq_u32_e32 vcc, 0, v0
	s_and_saveexec_b64 s[0:1], vcc
	s_cbranch_execz .LBB3_12
; %bb.11:
	v_add_f32_e32 v1, s8, v2
	s_mov_b32 s3, 0x800000
	v_mul_f32_e32 v2, 0x4b800000, v1
	v_cmp_gt_f32_e32 vcc, s3, v1
	s_nop 1
	v_cndmask_b32_e32 v1, v1, v2, vcc
	v_rsq_f32_e32 v1, v1
	s_nop 0
	v_mul_f32_e32 v2, 0x45800000, v1
	v_cndmask_b32_e32 v1, v1, v2, vcc
	v_mov_b32_e32 v2, 0
	ds_write_b32 v2, v1 offset:64
.LBB3_12:
	s_or_b64 exec, exec, s[0:1]
	s_waitcnt lgkmcnt(0)
	s_barrier
	s_and_saveexec_b64 s[22:23], s[4:5]
	s_cbranch_execz .LBB3_15
; %bb.13:
	s_load_dword s3, s[12:13], 0x0
	v_mov_b32_e32 v2, 0
	s_add_u32 s4, s14, s18
	s_addc_u32 s5, s15, 0
	s_mov_b64 s[12:13], 0
	s_waitcnt lgkmcnt(0)
	v_div_scale_f32 v1, s[0:1], s3, s3, 1.0
	v_rcp_f32_e32 v3, v1
	v_div_scale_f32 v5, vcc, 1.0, s3, 1.0
	s_mov_b32 s8, 0xc3e00000
	v_fma_f32 v6, -v1, v3, 1.0
	v_fmac_f32_e32 v3, v6, v3
	v_mul_f32_e32 v6, v5, v3
	v_fma_f32 v7, -v1, v6, v5
	v_fmac_f32_e32 v6, v7, v3
	v_fma_f32 v1, -v1, v6, v5
	ds_read_b32 v5, v2 offset:64
	v_div_fmas_f32 v1, v1, v3, v6
	v_div_fixup_f32 v1, v1, s3, 1.0
	s_mov_b32 s3, 0x43e00000
	v_mov_b32_e32 v6, 0x43e00000
	v_mov_b32_e32 v7, 0xc3e00000
	s_mov_b32 s11, 0x7f800000
	s_mov_b32 s14, 0x43700000
	v_mov_b32_e32 v8, 0xc3700000
	v_mov_b32_e32 v2, v0
.LBB3_14:                               ; =>This Inner Loop Header: Depth=1
	v_ashrrev_i32_e32 v3, 31, v2
	v_lshlrev_b64 v[10:11], 1, v[2:3]
	v_lshl_add_u64 v[12:13], s[6:7], 0, v[10:11]
	global_load_ushort v9, v[12:13], off
	v_lshl_add_u64 v[10:11], s[20:21], 0, v[10:11]
	global_load_ushort v10, v[10:11], off
	v_mov_b32_e32 v12, 0
	s_waitcnt vmcnt(1) lgkmcnt(0)
	v_fma_mixlo_f16 v9, v5, v9, 0 op_sel_hi:[0,1,0]
	s_waitcnt vmcnt(0)
	v_mul_f16_e32 v9, v10, v9
	v_cvt_f32_f16_e32 v9, v9
	v_mul_f32_e32 v9, v1, v9
	v_cmp_nlt_f32_e32 vcc, s3, v9
	v_cmp_nlg_f32_e64 s[18:19], |v9|, s11
	s_and_b64 s[18:19], vcc, s[18:19]
	v_cndmask_b32_e32 v10, v6, v9, vcc
	v_cmp_ngt_f32_e64 s[0:1], s8, v10
	s_and_b64 vcc, s[18:19], s[0:1]
	s_nop 0
	v_cndmask_b32_e64 v9, v7, v10, s[0:1]
	v_med3_f32 v10, v9, s14, v8
	v_cndmask_b32_e32 v9, v10, v9, vcc
	v_cvt_pk_fp8_f32 v12, v9, v9
	v_lshl_add_u64 v[10:11], s[4:5], 0, v[2:3]
	v_add_u32_e32 v2, v2, v4
	v_cmp_le_i32_e32 vcc, s9, v2
	s_or_b64 s[12:13], vcc, s[12:13]
	global_store_byte v[10:11], v12, off
	s_andn2_b64 exec, exec, s[12:13]
	s_cbranch_execnz .LBB3_14
.LBB3_15:
	s_or_b64 exec, exec, s[22:23]
	v_cmp_gt_i32_e32 vcc, s10, v0
	s_and_saveexec_b64 s[0:1], vcc
	s_cbranch_execz .LBB3_18
; %bb.16:
	s_mul_i32 s0, s2, s10
	s_mov_b32 s1, 0
	s_lshl_b64 s[0:1], s[0:1], 1
	s_add_u32 s0, s16, s0
	s_addc_u32 s1, s17, s1
	s_mov_b64 s[2:3], 0
	v_mov_b32_e32 v2, 0
.LBB3_17:                               ; =>This Inner Loop Header: Depth=1
	v_ashrrev_i32_e32 v1, 31, v0
	v_lshl_add_u64 v[6:7], v[0:1], 1, s[0:1]
	v_add_u32_e32 v0, v0, v4
	v_cmp_le_i32_e32 vcc, s10, v0
	s_or_b64 s[2:3], vcc, s[2:3]
	global_store_short v[6:7], v2, off
	s_andn2_b64 exec, exec, s[2:3]
	s_cbranch_execnz .LBB3_17
.LBB3_18:
	s_endpgm
	.section	.rodata,"a",@progbits
	.p2align	6, 0x0
	.amdhsa_kernel _Z20_residual_rms_scalarIhLb1EEvPK6__halfPS0_S2_PKfPT_S3_fii
		.amdhsa_group_segment_fixed_size 68
		.amdhsa_private_segment_fixed_size 0
		.amdhsa_kernarg_size 320
		.amdhsa_user_sgpr_count 2
		.amdhsa_user_sgpr_dispatch_ptr 0
		.amdhsa_user_sgpr_queue_ptr 0
		.amdhsa_user_sgpr_kernarg_segment_ptr 1
		.amdhsa_user_sgpr_dispatch_id 0
		.amdhsa_user_sgpr_kernarg_preload_length 0
		.amdhsa_user_sgpr_kernarg_preload_offset 0
		.amdhsa_user_sgpr_private_segment_size 0
		.amdhsa_uses_dynamic_stack 0
		.amdhsa_enable_private_segment 0
		.amdhsa_system_sgpr_workgroup_id_x 1
		.amdhsa_system_sgpr_workgroup_id_y 0
		.amdhsa_system_sgpr_workgroup_id_z 0
		.amdhsa_system_sgpr_workgroup_info 0
		.amdhsa_system_vgpr_workitem_id 0
		.amdhsa_next_free_vgpr 14
		.amdhsa_next_free_sgpr 28
		.amdhsa_accum_offset 16
		.amdhsa_reserve_vcc 1
		.amdhsa_float_round_mode_32 0
		.amdhsa_float_round_mode_16_64 0
		.amdhsa_float_denorm_mode_32 3
		.amdhsa_float_denorm_mode_16_64 3
		.amdhsa_dx10_clamp 1
		.amdhsa_ieee_mode 1
		.amdhsa_fp16_overflow 0
		.amdhsa_tg_split 0
		.amdhsa_exception_fp_ieee_invalid_op 0
		.amdhsa_exception_fp_denorm_src 0
		.amdhsa_exception_fp_ieee_div_zero 0
		.amdhsa_exception_fp_ieee_overflow 0
		.amdhsa_exception_fp_ieee_underflow 0
		.amdhsa_exception_fp_ieee_inexact 0
		.amdhsa_exception_int_div_zero 0
	.end_amdhsa_kernel
	.section	.text._Z20_residual_rms_scalarIhLb1EEvPK6__halfPS0_S2_PKfPT_S3_fii,"axG",@progbits,_Z20_residual_rms_scalarIhLb1EEvPK6__halfPS0_S2_PKfPT_S3_fii,comdat
.Lfunc_end3:
	.size	_Z20_residual_rms_scalarIhLb1EEvPK6__halfPS0_S2_PKfPT_S3_fii, .Lfunc_end3-_Z20_residual_rms_scalarIhLb1EEvPK6__halfPS0_S2_PKfPT_S3_fii
                                        ; -- End function
	.section	.AMDGPU.csdata,"",@progbits
; Kernel info:
; codeLenInByte = 1572
; NumSgprs: 34
; NumVgprs: 14
; NumAgprs: 0
; TotalNumVgprs: 14
; ScratchSize: 0
; MemoryBound: 0
; FloatMode: 240
; IeeeMode: 1
; LDSByteSize: 68 bytes/workgroup (compile time only)
; SGPRBlocks: 4
; VGPRBlocks: 1
; NumSGPRsForWavesPerEU: 34
; NumVGPRsForWavesPerEU: 14
; AccumOffset: 16
; Occupancy: 8
; WaveLimiterHint : 0
; COMPUTE_PGM_RSRC2:SCRATCH_EN: 0
; COMPUTE_PGM_RSRC2:USER_SGPR: 2
; COMPUTE_PGM_RSRC2:TRAP_HANDLER: 0
; COMPUTE_PGM_RSRC2:TGID_X_EN: 1
; COMPUTE_PGM_RSRC2:TGID_Y_EN: 0
; COMPUTE_PGM_RSRC2:TGID_Z_EN: 0
; COMPUTE_PGM_RSRC2:TIDIG_COMP_CNT: 0
; COMPUTE_PGM_RSRC3_GFX90A:ACCUM_OFFSET: 3
; COMPUTE_PGM_RSRC3_GFX90A:TG_SPLIT: 0
	.text
	.p2alignl 6, 3212836864
	.fill 256, 4, 3212836864
	.type	__hip_cuid_3b9190b259945c56,@object ; @__hip_cuid_3b9190b259945c56
	.section	.bss,"aw",@nobits
	.globl	__hip_cuid_3b9190b259945c56
__hip_cuid_3b9190b259945c56:
	.byte	0                               ; 0x0
	.size	__hip_cuid_3b9190b259945c56, 1

	.ident	"AMD clang version 19.0.0git (https://github.com/RadeonOpenCompute/llvm-project roc-6.4.0 25133 c7fe45cf4b819c5991fe208aaa96edf142730f1d)"
	.section	".note.GNU-stack","",@progbits
	.addrsig
	.addrsig_sym __hip_cuid_3b9190b259945c56
	.amdgpu_metadata
---
amdhsa.kernels:
  - .agpr_count:     0
    .args:
      - .actual_access:  read_only
        .address_space:  global
        .offset:         0
        .size:           8
        .value_kind:     global_buffer
      - .address_space:  global
        .offset:         8
        .size:           8
        .value_kind:     global_buffer
      - .actual_access:  read_only
        .address_space:  global
        .offset:         16
        .size:           8
        .value_kind:     global_buffer
      - .actual_access:  read_only
        .address_space:  global
        .offset:         24
        .size:           8
        .value_kind:     global_buffer
      - .actual_access:  write_only
        .address_space:  global
        .offset:         32
        .size:           8
        .value_kind:     global_buffer
      - .actual_access:  read_only
        .address_space:  global
        .offset:         40
        .size:           8
        .value_kind:     global_buffer
      - .offset:         48
        .size:           4
        .value_kind:     by_value
      - .offset:         52
        .size:           4
        .value_kind:     by_value
      - .offset:         56
        .size:           4
        .value_kind:     by_value
      - .offset:         64
        .size:           4
        .value_kind:     hidden_block_count_x
      - .offset:         68
        .size:           4
        .value_kind:     hidden_block_count_y
      - .offset:         72
        .size:           4
        .value_kind:     hidden_block_count_z
      - .offset:         76
        .size:           2
        .value_kind:     hidden_group_size_x
      - .offset:         78
        .size:           2
        .value_kind:     hidden_group_size_y
      - .offset:         80
        .size:           2
        .value_kind:     hidden_group_size_z
      - .offset:         82
        .size:           2
        .value_kind:     hidden_remainder_x
      - .offset:         84
        .size:           2
        .value_kind:     hidden_remainder_y
      - .offset:         86
        .size:           2
        .value_kind:     hidden_remainder_z
      - .offset:         104
        .size:           8
        .value_kind:     hidden_global_offset_x
      - .offset:         112
        .size:           8
        .value_kind:     hidden_global_offset_y
      - .offset:         120
        .size:           8
        .value_kind:     hidden_global_offset_z
      - .offset:         128
        .size:           2
        .value_kind:     hidden_grid_dims
    .group_segment_fixed_size: 32836
    .kernarg_segment_align: 8
    .kernarg_segment_size: 320
    .language:       OpenCL C
    .language_version:
      - 2
      - 0
    .max_flat_workgroup_size: 1024
    .name:           _Z24_residual_rms_vectorizedI7__half2Lb0EEvPK6__halfPS1_S3_PKfPT_S4_fii
    .private_segment_fixed_size: 0
    .sgpr_count:     27
    .sgpr_spill_count: 0
    .symbol:         _Z24_residual_rms_vectorizedI7__half2Lb0EEvPK6__halfPS1_S3_PKfPT_S4_fii.kd
    .uniform_work_group_size: 1
    .uses_dynamic_stack: false
    .vgpr_count:     26
    .vgpr_spill_count: 0
    .wavefront_size: 64
  - .agpr_count:     0
    .args:
      - .actual_access:  read_only
        .address_space:  global
        .offset:         0
        .size:           8
        .value_kind:     global_buffer
      - .address_space:  global
        .offset:         8
        .size:           8
        .value_kind:     global_buffer
      - .actual_access:  read_only
        .address_space:  global
        .offset:         16
        .size:           8
        .value_kind:     global_buffer
      - .actual_access:  read_only
        .address_space:  global
        .offset:         24
        .size:           8
        .value_kind:     global_buffer
      - .actual_access:  write_only
        .address_space:  global
        .offset:         32
        .size:           8
        .value_kind:     global_buffer
      - .actual_access:  read_only
        .address_space:  global
        .offset:         40
        .size:           8
        .value_kind:     global_buffer
      - .offset:         48
        .size:           4
        .value_kind:     by_value
      - .offset:         52
        .size:           4
        .value_kind:     by_value
      - .offset:         56
        .size:           4
        .value_kind:     by_value
      - .offset:         64
        .size:           4
        .value_kind:     hidden_block_count_x
      - .offset:         68
        .size:           4
        .value_kind:     hidden_block_count_y
      - .offset:         72
        .size:           4
        .value_kind:     hidden_block_count_z
      - .offset:         76
        .size:           2
        .value_kind:     hidden_group_size_x
      - .offset:         78
        .size:           2
        .value_kind:     hidden_group_size_y
      - .offset:         80
        .size:           2
        .value_kind:     hidden_group_size_z
      - .offset:         82
        .size:           2
        .value_kind:     hidden_remainder_x
      - .offset:         84
        .size:           2
        .value_kind:     hidden_remainder_y
      - .offset:         86
        .size:           2
        .value_kind:     hidden_remainder_z
      - .offset:         104
        .size:           8
        .value_kind:     hidden_global_offset_x
      - .offset:         112
        .size:           8
        .value_kind:     hidden_global_offset_y
      - .offset:         120
        .size:           8
        .value_kind:     hidden_global_offset_z
      - .offset:         128
        .size:           2
        .value_kind:     hidden_grid_dims
    .group_segment_fixed_size: 68
    .kernarg_segment_align: 8
    .kernarg_segment_size: 320
    .language:       OpenCL C
    .language_version:
      - 2
      - 0
    .max_flat_workgroup_size: 1024
    .name:           _Z20_residual_rms_scalarI6__halfLb0EEvPKS0_PS0_S2_PKfPT_S3_fii
    .private_segment_fixed_size: 0
    .sgpr_count:     25
    .sgpr_spill_count: 0
    .symbol:         _Z20_residual_rms_scalarI6__halfLb0EEvPKS0_PS0_S2_PKfPT_S3_fii.kd
    .uniform_work_group_size: 1
    .uses_dynamic_stack: false
    .vgpr_count:     10
    .vgpr_spill_count: 0
    .wavefront_size: 64
  - .agpr_count:     0
    .args:
      - .actual_access:  read_only
        .address_space:  global
        .offset:         0
        .size:           8
        .value_kind:     global_buffer
      - .address_space:  global
        .offset:         8
        .size:           8
        .value_kind:     global_buffer
      - .actual_access:  read_only
        .address_space:  global
        .offset:         16
        .size:           8
        .value_kind:     global_buffer
      - .actual_access:  read_only
        .address_space:  global
        .offset:         24
        .size:           8
        .value_kind:     global_buffer
      - .actual_access:  write_only
        .address_space:  global
        .offset:         32
        .size:           8
        .value_kind:     global_buffer
      - .actual_access:  write_only
        .address_space:  global
        .offset:         40
        .size:           8
        .value_kind:     global_buffer
      - .offset:         48
        .size:           4
        .value_kind:     by_value
      - .offset:         52
        .size:           4
        .value_kind:     by_value
      - .offset:         56
        .size:           4
        .value_kind:     by_value
      - .offset:         64
        .size:           4
        .value_kind:     hidden_block_count_x
      - .offset:         68
        .size:           4
        .value_kind:     hidden_block_count_y
      - .offset:         72
        .size:           4
        .value_kind:     hidden_block_count_z
      - .offset:         76
        .size:           2
        .value_kind:     hidden_group_size_x
      - .offset:         78
        .size:           2
        .value_kind:     hidden_group_size_y
      - .offset:         80
        .size:           2
        .value_kind:     hidden_group_size_z
      - .offset:         82
        .size:           2
        .value_kind:     hidden_remainder_x
      - .offset:         84
        .size:           2
        .value_kind:     hidden_remainder_y
      - .offset:         86
        .size:           2
        .value_kind:     hidden_remainder_z
      - .offset:         104
        .size:           8
        .value_kind:     hidden_global_offset_x
      - .offset:         112
        .size:           8
        .value_kind:     hidden_global_offset_y
      - .offset:         120
        .size:           8
        .value_kind:     hidden_global_offset_z
      - .offset:         128
        .size:           2
        .value_kind:     hidden_grid_dims
    .group_segment_fixed_size: 32836
    .kernarg_segment_align: 8
    .kernarg_segment_size: 320
    .language:       OpenCL C
    .language_version:
      - 2
      - 0
    .max_flat_workgroup_size: 1024
    .name:           _Z24_residual_rms_vectorizedItLb1EEvPK6__halfPS0_S2_PKfPT_S3_fii
    .private_segment_fixed_size: 0
    .sgpr_count:     32
    .sgpr_spill_count: 0
    .symbol:         _Z24_residual_rms_vectorizedItLb1EEvPK6__halfPS0_S2_PKfPT_S3_fii.kd
    .uniform_work_group_size: 1
    .uses_dynamic_stack: false
    .vgpr_count:     37
    .vgpr_spill_count: 0
    .wavefront_size: 64
  - .agpr_count:     0
    .args:
      - .actual_access:  read_only
        .address_space:  global
        .offset:         0
        .size:           8
        .value_kind:     global_buffer
      - .address_space:  global
        .offset:         8
        .size:           8
        .value_kind:     global_buffer
      - .actual_access:  read_only
        .address_space:  global
        .offset:         16
        .size:           8
        .value_kind:     global_buffer
      - .actual_access:  read_only
        .address_space:  global
        .offset:         24
        .size:           8
        .value_kind:     global_buffer
      - .actual_access:  write_only
        .address_space:  global
        .offset:         32
        .size:           8
        .value_kind:     global_buffer
      - .actual_access:  write_only
        .address_space:  global
        .offset:         40
        .size:           8
        .value_kind:     global_buffer
      - .offset:         48
        .size:           4
        .value_kind:     by_value
      - .offset:         52
        .size:           4
        .value_kind:     by_value
      - .offset:         56
        .size:           4
        .value_kind:     by_value
      - .offset:         64
        .size:           4
        .value_kind:     hidden_block_count_x
      - .offset:         68
        .size:           4
        .value_kind:     hidden_block_count_y
      - .offset:         72
        .size:           4
        .value_kind:     hidden_block_count_z
      - .offset:         76
        .size:           2
        .value_kind:     hidden_group_size_x
      - .offset:         78
        .size:           2
        .value_kind:     hidden_group_size_y
      - .offset:         80
        .size:           2
        .value_kind:     hidden_group_size_z
      - .offset:         82
        .size:           2
        .value_kind:     hidden_remainder_x
      - .offset:         84
        .size:           2
        .value_kind:     hidden_remainder_y
      - .offset:         86
        .size:           2
        .value_kind:     hidden_remainder_z
      - .offset:         104
        .size:           8
        .value_kind:     hidden_global_offset_x
      - .offset:         112
        .size:           8
        .value_kind:     hidden_global_offset_y
      - .offset:         120
        .size:           8
        .value_kind:     hidden_global_offset_z
      - .offset:         128
        .size:           2
        .value_kind:     hidden_grid_dims
    .group_segment_fixed_size: 68
    .kernarg_segment_align: 8
    .kernarg_segment_size: 320
    .language:       OpenCL C
    .language_version:
      - 2
      - 0
    .max_flat_workgroup_size: 1024
    .name:           _Z20_residual_rms_scalarIhLb1EEvPK6__halfPS0_S2_PKfPT_S3_fii
    .private_segment_fixed_size: 0
    .sgpr_count:     34
    .sgpr_spill_count: 0
    .symbol:         _Z20_residual_rms_scalarIhLb1EEvPK6__halfPS0_S2_PKfPT_S3_fii.kd
    .uniform_work_group_size: 1
    .uses_dynamic_stack: false
    .vgpr_count:     14
    .vgpr_spill_count: 0
    .wavefront_size: 64
amdhsa.target:   amdgcn-amd-amdhsa--gfx942
amdhsa.version:
  - 1
  - 2
...

	.end_amdgpu_metadata
